;; amdgpu-corpus repo=ROCm/rocFFT kind=compiled arch=gfx906 opt=O3
	.text
	.amdgcn_target "amdgcn-amd-amdhsa--gfx906"
	.amdhsa_code_object_version 6
	.protected	bluestein_single_fwd_len147_dim1_dp_op_CI_CI ; -- Begin function bluestein_single_fwd_len147_dim1_dp_op_CI_CI
	.globl	bluestein_single_fwd_len147_dim1_dp_op_CI_CI
	.p2align	8
	.type	bluestein_single_fwd_len147_dim1_dp_op_CI_CI,@function
bluestein_single_fwd_len147_dim1_dp_op_CI_CI: ; @bluestein_single_fwd_len147_dim1_dp_op_CI_CI
; %bb.0:
	v_mul_u32_u24_e32 v1, 0xc31, v0
	s_load_dwordx4 s[8:11], s[4:5], 0x28
	v_lshrrev_b32_e32 v1, 16, v1
	v_mad_u64_u32 v[112:113], s[0:1], s6, 3, v[1:2]
	v_mov_b32_e32 v113, 0
	s_waitcnt lgkmcnt(0)
	v_cmp_gt_u64_e32 vcc, s[8:9], v[112:113]
	s_and_saveexec_b64 s[0:1], vcc
	s_cbranch_execz .LBB0_10
; %bb.1:
	s_load_dwordx4 s[0:3], s[4:5], 0x18
	s_load_dwordx4 s[12:15], s[4:5], 0x0
	v_mul_lo_u16_e32 v1, 21, v1
	v_sub_u16_e32 v115, v0, v1
	v_lshlrev_b32_e32 v117, 4, v115
	s_waitcnt lgkmcnt(0)
	s_load_dwordx4 s[16:19], s[0:1], 0x0
	s_mov_b32 s24, 0xe976ee23
	s_mov_b32 s25, 0xbfe11646
	;; [unrolled: 1-line block ×4, first 2 shown]
	s_waitcnt lgkmcnt(0)
	v_mad_u64_u32 v[0:1], s[0:1], s18, v112, 0
	v_mad_u64_u32 v[2:3], s[0:1], s16, v115, 0
	s_mov_b32 s26, 0xaaaaaaaa
	s_mov_b32 s28, 0x5476071b
	v_mad_u64_u32 v[4:5], s[0:1], s19, v112, v[1:2]
	s_mov_b32 s27, 0xbff2aaaa
	s_mov_b32 s29, 0x3fe77f67
	v_mad_u64_u32 v[5:6], s[0:1], s17, v115, v[3:4]
	v_mov_b32_e32 v1, v4
	v_lshlrev_b64 v[0:1], 4, v[0:1]
	v_mov_b32_e32 v6, s11
	v_mov_b32_e32 v3, v5
	v_add_co_u32_e32 v4, vcc, s10, v0
	v_addc_co_u32_e32 v5, vcc, v6, v1, vcc
	v_lshlrev_b64 v[0:1], 4, v[2:3]
	s_mul_i32 s0, s17, 0x150
	v_add_co_u32_e32 v0, vcc, v4, v0
	s_mul_hi_u32 s1, s16, 0x150
	v_addc_co_u32_e32 v1, vcc, v5, v1, vcc
	s_add_i32 s0, s1, s0
	s_mul_i32 s1, s16, 0x150
	v_mov_b32_e32 v3, s0
	v_add_co_u32_e32 v2, vcc, s1, v0
	v_addc_co_u32_e32 v3, vcc, v1, v3, vcc
	global_load_dwordx4 v[28:31], v[0:1], off
	global_load_dwordx4 v[32:35], v[2:3], off
	global_load_dwordx4 v[24:27], v117, s[12:13]
	global_load_dwordx4 v[12:15], v117, s[12:13] offset:336
	v_mov_b32_e32 v1, s0
	v_add_co_u32_e32 v0, vcc, s1, v2
	v_addc_co_u32_e32 v1, vcc, v3, v1, vcc
	v_mov_b32_e32 v3, s0
	v_add_co_u32_e32 v2, vcc, s1, v0
	v_addc_co_u32_e32 v3, vcc, v1, v3, vcc
	global_load_dwordx4 v[36:39], v[0:1], off
	global_load_dwordx4 v[40:43], v[2:3], off
	global_load_dwordx4 v[20:23], v117, s[12:13] offset:672
	global_load_dwordx4 v[4:7], v117, s[12:13] offset:1008
	v_mov_b32_e32 v1, s0
	v_add_co_u32_e32 v0, vcc, s1, v2
	v_addc_co_u32_e32 v1, vcc, v3, v1, vcc
	v_mov_b32_e32 v2, s0
	v_add_co_u32_e32 v8, vcc, s1, v0
	global_load_dwordx4 v[44:47], v[0:1], off
	v_addc_co_u32_e32 v9, vcc, v1, v2, vcc
	global_load_dwordx4 v[48:51], v[8:9], off
	global_load_dwordx4 v[16:19], v117, s[12:13] offset:1344
	global_load_dwordx4 v[0:3], v117, s[12:13] offset:1680
	v_mov_b32_e32 v10, s0
	v_add_co_u32_e32 v56, vcc, s1, v8
	v_addc_co_u32_e32 v57, vcc, v9, v10, vcc
	global_load_dwordx4 v[8:11], v117, s[12:13] offset:2016
	global_load_dwordx4 v[52:55], v[56:57], off
	s_mov_b32 s0, 0xaaaaaaab
	v_mul_hi_u32 v56, v112, s0
	s_load_dwordx4 s[8:11], s[2:3], 0x0
	s_mov_b32 s2, 0x37e14327
	s_mov_b32 s0, 0x36b3c0b5
	v_lshrrev_b32_e32 v56, 1, v56
	v_lshl_add_u32 v56, v56, 1, v56
	v_sub_u32_e32 v56, v112, v56
	v_mul_u32_u24_e32 v56, 0x93, v56
	v_lshlrev_b32_e32 v120, 4, v56
	v_add_u32_e32 v116, v117, v120
	s_mov_b32 s3, 0x3fe948f6
	s_mov_b32 s1, 0x3fac98ee
	;; [unrolled: 1-line block ×10, first 2 shown]
	v_add_co_u32_e32 v113, vcc, s12, v117
                                        ; implicit-def: $vgpr108_vgpr109
	s_waitcnt vmcnt(11)
	v_mul_f64 v[56:57], v[30:31], v[26:27]
	v_mul_f64 v[58:59], v[28:29], v[26:27]
	s_waitcnt vmcnt(10)
	v_mul_f64 v[60:61], v[34:35], v[14:15]
	v_mul_f64 v[62:63], v[32:33], v[14:15]
	v_fma_f64 v[28:29], v[28:29], v[24:25], v[56:57]
	v_fma_f64 v[30:31], v[30:31], v[24:25], -v[58:59]
	v_fma_f64 v[32:33], v[32:33], v[12:13], v[60:61]
	s_waitcnt vmcnt(7)
	v_mul_f64 v[64:65], v[38:39], v[22:23]
	v_mul_f64 v[66:67], v[36:37], v[22:23]
	s_waitcnt vmcnt(6)
	v_mul_f64 v[68:69], v[42:43], v[6:7]
	v_mul_f64 v[70:71], v[40:41], v[6:7]
	v_fma_f64 v[34:35], v[34:35], v[12:13], -v[62:63]
	v_fma_f64 v[36:37], v[36:37], v[20:21], v[64:65]
	v_fma_f64 v[38:39], v[38:39], v[20:21], -v[66:67]
	v_fma_f64 v[40:41], v[40:41], v[4:5], v[68:69]
	v_fma_f64 v[42:43], v[42:43], v[4:5], -v[70:71]
	s_waitcnt vmcnt(3)
	v_mul_f64 v[72:73], v[46:47], v[18:19]
	v_mul_f64 v[74:75], v[44:45], v[18:19]
	s_waitcnt vmcnt(2)
	v_mul_f64 v[76:77], v[50:51], v[2:3]
	v_mul_f64 v[78:79], v[48:49], v[2:3]
	;; [unrolled: 3-line block ×3, first 2 shown]
	v_fma_f64 v[44:45], v[44:45], v[16:17], v[72:73]
	v_fma_f64 v[46:47], v[46:47], v[16:17], -v[74:75]
	v_fma_f64 v[48:49], v[48:49], v[0:1], v[76:77]
	v_fma_f64 v[50:51], v[50:51], v[0:1], -v[78:79]
	;; [unrolled: 2-line block ×3, first 2 shown]
	ds_write_b128 v116, v[28:31]
	ds_write_b128 v116, v[32:35] offset:336
	ds_write_b128 v116, v[36:39] offset:672
	;; [unrolled: 1-line block ×6, first 2 shown]
	s_waitcnt lgkmcnt(0)
	; wave barrier
	s_waitcnt lgkmcnt(0)
	ds_read_b128 v[28:31], v116
	ds_read_b128 v[32:35], v116 offset:336
	ds_read_b128 v[36:39], v116 offset:2016
	;; [unrolled: 1-line block ×6, first 2 shown]
	s_waitcnt lgkmcnt(4)
	v_add_f64 v[56:57], v[32:33], v[36:37]
	v_add_f64 v[58:59], v[34:35], v[38:39]
	v_add_f64 v[32:33], v[32:33], -v[36:37]
	v_add_f64 v[34:35], v[34:35], -v[38:39]
	s_waitcnt lgkmcnt(0)
	v_add_f64 v[36:37], v[40:41], v[52:53]
	v_add_f64 v[38:39], v[42:43], v[54:55]
	v_add_f64 v[40:41], v[40:41], -v[52:53]
	v_add_f64 v[42:43], v[42:43], -v[54:55]
	v_add_f64 v[52:53], v[44:45], v[48:49]
	v_add_f64 v[54:55], v[46:47], v[50:51]
	v_add_f64 v[44:45], v[48:49], -v[44:45]
	v_add_f64 v[46:47], v[50:51], -v[46:47]
	;; [unrolled: 4-line block ×3, first 2 shown]
	v_add_f64 v[56:57], v[56:57], -v[52:53]
	v_add_f64 v[58:59], v[58:59], -v[54:55]
	;; [unrolled: 1-line block ×4, first 2 shown]
	v_add_f64 v[64:65], v[44:45], v[40:41]
	v_add_f64 v[66:67], v[46:47], v[42:43]
	v_add_f64 v[68:69], v[44:45], -v[40:41]
	v_add_f64 v[70:71], v[46:47], -v[42:43]
	v_add_f64 v[48:49], v[52:53], v[48:49]
	v_add_f64 v[50:51], v[54:55], v[50:51]
	v_add_f64 v[40:41], v[40:41], -v[32:33]
	v_add_f64 v[42:43], v[42:43], -v[34:35]
	;; [unrolled: 1-line block ×4, first 2 shown]
	v_add_f64 v[32:33], v[64:65], v[32:33]
	v_add_f64 v[34:35], v[66:67], v[34:35]
	;; [unrolled: 1-line block ×4, first 2 shown]
	v_mul_f64 v[52:53], v[56:57], s[2:3]
	v_mul_f64 v[54:55], v[58:59], s[2:3]
	;; [unrolled: 1-line block ×8, first 2 shown]
	v_fma_f64 v[48:49], v[48:49], s[26:27], v[28:29]
	v_fma_f64 v[50:51], v[50:51], s[26:27], v[30:31]
	;; [unrolled: 1-line block ×4, first 2 shown]
	v_fma_f64 v[56:57], v[60:61], s[28:29], -v[56:57]
	v_fma_f64 v[58:59], v[62:63], s[28:29], -v[58:59]
	;; [unrolled: 1-line block ×4, first 2 shown]
	v_fma_f64 v[60:61], v[44:45], s[16:17], v[64:65]
	v_fma_f64 v[62:63], v[46:47], s[16:17], v[66:67]
	v_fma_f64 v[44:45], v[44:45], s[22:23], -v[68:69]
	v_fma_f64 v[46:47], v[46:47], s[22:23], -v[70:71]
	v_fma_f64 v[40:41], v[40:41], s[6:7], -v[64:65]
	v_fma_f64 v[42:43], v[42:43], s[6:7], -v[66:67]
	v_add_f64 v[64:65], v[36:37], v[48:49]
	v_add_f64 v[66:67], v[38:39], v[50:51]
	v_add_f64 v[56:57], v[56:57], v[48:49]
	v_add_f64 v[58:59], v[58:59], v[50:51]
	v_add_f64 v[48:49], v[52:53], v[48:49]
	v_add_f64 v[50:51], v[54:55], v[50:51]
	v_fma_f64 v[52:53], v[34:35], s[18:19], v[62:63]
	v_fma_f64 v[54:55], v[32:33], s[18:19], v[60:61]
	;; [unrolled: 1-line block ×6, first 2 shown]
	s_waitcnt lgkmcnt(0)
	; wave barrier
	v_add_f64 v[32:33], v[64:65], v[52:53]
	v_add_f64 v[34:35], v[66:67], -v[54:55]
	v_add_f64 v[36:37], v[48:49], v[60:61]
	v_add_f64 v[38:39], v[50:51], -v[62:63]
	v_add_f64 v[40:41], v[56:57], -v[44:45]
	v_add_f64 v[42:43], v[46:47], v[58:59]
	v_add_f64 v[44:45], v[56:57], v[44:45]
	v_add_f64 v[46:47], v[58:59], -v[46:47]
	v_add_f64 v[48:49], v[48:49], -v[60:61]
	v_add_f64 v[50:51], v[62:63], v[50:51]
	v_add_f64 v[52:53], v[64:65], -v[52:53]
	v_add_f64 v[54:55], v[54:55], v[66:67]
	v_mul_lo_u16_e32 v56, 7, v115
	v_lshl_add_u32 v118, v56, 4, v120
	ds_write_b128 v118, v[28:31]
	ds_write_b128 v118, v[32:35] offset:16
	ds_write_b128 v118, v[36:39] offset:32
	;; [unrolled: 1-line block ×6, first 2 shown]
	v_mov_b32_e32 v28, 37
	v_mul_lo_u16_sdwa v28, v115, v28 dst_sel:DWORD dst_unused:UNUSED_PAD src0_sel:BYTE_0 src1_sel:DWORD
	v_sub_u16_sdwa v29, v115, v28 dst_sel:DWORD dst_unused:UNUSED_PAD src0_sel:DWORD src1_sel:BYTE_1
	v_lshrrev_b16_e32 v29, 1, v29
	v_and_b32_e32 v29, 0x7f, v29
	v_add_u16_sdwa v28, v29, v28 dst_sel:DWORD dst_unused:UNUSED_PAD src0_sel:DWORD src1_sel:BYTE_1
	v_lshrrev_b16_e32 v104, 2, v28
	v_mul_lo_u16_e32 v28, 7, v104
	v_sub_u16_e32 v105, v115, v28
	v_mov_b32_e32 v28, 6
	v_mul_u32_u24_sdwa v28, v105, v28 dst_sel:DWORD dst_unused:UNUSED_PAD src0_sel:BYTE_0 src1_sel:DWORD
	v_lshlrev_b32_e32 v52, 4, v28
	s_waitcnt lgkmcnt(0)
	; wave barrier
	s_waitcnt lgkmcnt(0)
	global_load_dwordx4 v[36:39], v52, s[14:15]
	global_load_dwordx4 v[32:35], v52, s[14:15] offset:16
	global_load_dwordx4 v[28:31], v52, s[14:15] offset:32
	;; [unrolled: 1-line block ×5, first 2 shown]
	ds_read_b128 v[52:55], v116 offset:336
	ds_read_b128 v[56:59], v116 offset:672
	;; [unrolled: 1-line block ×3, first 2 shown]
	ds_read_b128 v[64:67], v116
	ds_read_b128 v[68:71], v116 offset:1344
	ds_read_b128 v[72:75], v116 offset:1680
	;; [unrolled: 1-line block ×3, first 2 shown]
	s_waitcnt lgkmcnt(0)
	; wave barrier
	s_waitcnt vmcnt(5) lgkmcnt(0)
	v_mul_f64 v[80:81], v[54:55], v[38:39]
	v_mul_f64 v[82:83], v[52:53], v[38:39]
	s_waitcnt vmcnt(4)
	v_mul_f64 v[84:85], v[58:59], v[34:35]
	v_mul_f64 v[86:87], v[56:57], v[34:35]
	s_waitcnt vmcnt(2)
	v_mul_f64 v[92:93], v[76:77], v[50:51]
	s_waitcnt vmcnt(1)
	v_mul_f64 v[94:95], v[72:73], v[46:47]
	v_mul_f64 v[88:89], v[62:63], v[30:31]
	;; [unrolled: 1-line block ×3, first 2 shown]
	v_fma_f64 v[80:81], v[52:53], v[36:37], -v[80:81]
	v_fma_f64 v[82:83], v[54:55], v[36:37], v[82:83]
	v_mul_f64 v[52:53], v[78:79], v[50:51]
	v_mul_f64 v[54:55], v[74:75], v[46:47]
	v_fma_f64 v[56:57], v[56:57], v[32:33], -v[84:85]
	v_fma_f64 v[58:59], v[58:59], v[32:33], v[86:87]
	s_waitcnt vmcnt(0)
	v_mul_f64 v[84:85], v[70:71], v[42:43]
	v_mul_f64 v[86:87], v[68:69], v[42:43]
	v_fma_f64 v[60:61], v[60:61], v[28:29], -v[88:89]
	v_fma_f64 v[62:63], v[62:63], v[28:29], v[90:91]
	v_fma_f64 v[76:77], v[76:77], v[48:49], -v[52:53]
	v_fma_f64 v[52:53], v[72:73], v[44:45], -v[54:55]
	v_fma_f64 v[72:73], v[78:79], v[48:49], v[92:93]
	v_fma_f64 v[54:55], v[74:75], v[44:45], v[94:95]
	v_fma_f64 v[68:69], v[68:69], v[40:41], -v[84:85]
	v_fma_f64 v[70:71], v[70:71], v[40:41], v[86:87]
	v_add_f64 v[74:75], v[80:81], v[76:77]
	v_add_f64 v[78:79], v[56:57], v[52:53]
	;; [unrolled: 1-line block ×6, first 2 shown]
	v_add_f64 v[58:59], v[58:59], -v[54:55]
	v_add_f64 v[62:63], v[70:71], -v[62:63]
	;; [unrolled: 1-line block ×3, first 2 shown]
	v_add_f64 v[90:91], v[78:79], v[74:75]
	v_add_f64 v[60:61], v[68:69], -v[60:61]
	v_add_f64 v[94:95], v[86:87], v[84:85]
	v_add_f64 v[68:69], v[88:89], -v[78:79]
	v_add_f64 v[70:71], v[92:93], -v[86:87]
	v_add_f64 v[90:91], v[88:89], v[90:91]
	v_add_f64 v[98:99], v[60:61], v[56:57]
	;; [unrolled: 1-line block ×3, first 2 shown]
	v_mul_f64 v[96:97], v[70:71], s[0:1]
	v_add_f64 v[52:53], v[64:65], v[90:91]
	v_add_f64 v[64:65], v[80:81], -v[76:77]
	v_add_f64 v[54:55], v[66:67], v[94:95]
	v_add_f64 v[66:67], v[82:83], -v[72:73]
	v_add_f64 v[72:73], v[78:79], -v[74:75]
	;; [unrolled: 1-line block ×5, first 2 shown]
	v_add_f64 v[82:83], v[62:63], v[58:59]
	v_add_f64 v[56:57], v[56:57], -v[64:65]
	v_add_f64 v[74:75], v[74:75], -v[88:89]
	;; [unrolled: 1-line block ×4, first 2 shown]
	v_mul_f64 v[86:87], v[68:69], s[0:1]
	v_mul_f64 v[76:77], v[76:77], s[24:25]
	;; [unrolled: 1-line block ×3, first 2 shown]
	v_add_f64 v[98:99], v[98:99], v[64:65]
	v_add_f64 v[82:83], v[82:83], v[66:67]
	v_add_f64 v[60:61], v[64:65], -v[60:61]
	v_add_f64 v[62:63], v[66:67], -v[62:63]
	v_mul_f64 v[64:65], v[74:75], s[2:3]
	v_mul_f64 v[66:67], v[84:85], s[2:3]
	;; [unrolled: 1-line block ×4, first 2 shown]
	v_fma_f64 v[90:91], v[90:91], s[26:27], v[52:53]
	v_fma_f64 v[94:95], v[94:95], s[26:27], v[54:55]
	v_fma_f64 v[86:87], v[72:73], s[28:29], -v[86:87]
	v_fma_f64 v[96:97], v[78:79], s[28:29], -v[96:97]
	;; [unrolled: 1-line block ×8, first 2 shown]
	v_fma_f64 v[64:65], v[68:69], s[0:1], v[64:65]
	v_fma_f64 v[66:67], v[70:71], s[0:1], v[66:67]
	v_fma_f64 v[62:63], v[62:63], s[16:17], v[76:77]
	v_fma_f64 v[60:61], v[60:61], s[16:17], v[80:81]
	v_add_f64 v[86:87], v[86:87], v[90:91]
	v_add_f64 v[88:89], v[96:97], v[94:95]
	v_fma_f64 v[92:93], v[82:83], s[18:19], v[100:101]
	v_fma_f64 v[96:97], v[98:99], s[18:19], v[102:103]
	v_add_f64 v[68:69], v[72:73], v[90:91]
	v_add_f64 v[70:71], v[78:79], v[94:95]
	v_fma_f64 v[72:73], v[82:83], s[18:19], v[74:75]
	v_fma_f64 v[74:75], v[98:99], s[18:19], v[84:85]
	;; [unrolled: 4-line block ×3, first 2 shown]
	v_add_f64 v[56:57], v[86:87], -v[92:93]
	v_add_f64 v[58:59], v[96:97], v[88:89]
	v_add_f64 v[64:65], v[72:73], v[68:69]
	v_add_f64 v[66:67], v[70:71], -v[74:75]
	v_add_f64 v[60:61], v[92:93], v[86:87]
	v_add_f64 v[62:63], v[88:89], -v[96:97]
	v_add_f64 v[68:69], v[68:69], -v[72:73]
	v_add_f64 v[70:71], v[74:75], v[70:71]
	v_add_f64 v[72:73], v[80:81], v[76:77]
	v_add_f64 v[74:75], v[78:79], -v[82:83]
	v_add_f64 v[84:85], v[76:77], -v[80:81]
	v_add_f64 v[86:87], v[82:83], v[78:79]
	v_mul_u32_u24_e32 v76, 49, v104
	v_add_u32_sdwa v76, v76, v105 dst_sel:DWORD dst_unused:UNUSED_PAD src0_sel:DWORD src1_sel:BYTE_0
	v_lshl_add_u32 v119, v76, 4, v120
	ds_write_b128 v119, v[52:55]
	ds_write_b128 v119, v[72:75] offset:112
	ds_write_b128 v119, v[64:67] offset:224
	;; [unrolled: 1-line block ×6, first 2 shown]
	s_waitcnt lgkmcnt(0)
	; wave barrier
	s_waitcnt lgkmcnt(0)
	ds_read_b128 v[80:83], v116
	ds_read_b128 v[76:79], v116 offset:336
	ds_read_b128 v[96:99], v116 offset:784
	;; [unrolled: 1-line block ×5, first 2 shown]
	s_load_dwordx2 s[2:3], s[4:5], 0x38
	v_mov_b32_e32 v52, s13
	v_addc_co_u32_e32 v114, vcc, 0, v52, vcc
	v_cmp_gt_u16_e32 vcc, 7, v115
                                        ; implicit-def: $vgpr104_vgpr105
	s_and_saveexec_b64 s[0:1], vcc
	s_cbranch_execz .LBB0_3
; %bb.2:
	ds_read_b128 v[84:87], v116 offset:672
	ds_read_b128 v[104:107], v116 offset:1456
	;; [unrolled: 1-line block ×3, first 2 shown]
.LBB0_3:
	s_or_b64 exec, exec, s[0:1]
	v_lshlrev_b32_e32 v52, 5, v115
	v_add_co_u32_e64 v54, s[0:1], 42, v115
	v_addc_co_u32_e64 v53, s[0:1], 0, 0, s[0:1]
	global_load_dwordx4 v[60:63], v52, s[14:15] offset:688
	global_load_dwordx4 v[64:67], v52, s[14:15] offset:672
	v_add_u32_e32 v52, 0x2a0, v52
	global_load_dwordx4 v[68:71], v52, s[14:15] offset:688
	global_load_dwordx4 v[72:75], v52, s[14:15] offset:672
	v_add_co_u32_e64 v52, s[0:1], -7, v115
	v_addc_co_u32_e64 v55, s[0:1], 0, -1, s[0:1]
	v_cndmask_b32_e32 v53, v55, v53, vcc
	v_cndmask_b32_e32 v52, v52, v54, vcc
	v_lshlrev_b64 v[52:53], 5, v[52:53]
	v_mov_b32_e32 v54, s15
	v_add_co_u32_e64 v121, s[0:1], s14, v52
	v_addc_co_u32_e64 v122, s[0:1], v54, v53, s[0:1]
	global_load_dwordx4 v[56:59], v[121:122], off offset:672
	global_load_dwordx4 v[52:55], v[121:122], off offset:688
	s_mov_b32 s0, 0xe8584caa
	s_mov_b32 s1, 0x3febb67a
	;; [unrolled: 1-line block ×4, first 2 shown]
	s_waitcnt vmcnt(5) lgkmcnt(0)
	v_mul_f64 v[125:126], v[102:103], v[62:63]
	s_waitcnt vmcnt(4)
	v_mul_f64 v[121:122], v[98:99], v[66:67]
	v_mul_f64 v[123:124], v[96:97], v[66:67]
	;; [unrolled: 1-line block ×3, first 2 shown]
	s_waitcnt vmcnt(2)
	v_mul_f64 v[129:130], v[90:91], v[74:75]
	v_mul_f64 v[131:132], v[88:89], v[74:75]
	;; [unrolled: 1-line block ×4, first 2 shown]
	v_fma_f64 v[100:101], v[100:101], v[60:61], -v[125:126]
	v_fma_f64 v[96:97], v[96:97], v[64:65], -v[121:122]
	v_fma_f64 v[98:99], v[98:99], v[64:65], v[123:124]
	v_fma_f64 v[102:103], v[102:103], v[60:61], v[127:128]
	v_fma_f64 v[121:122], v[88:89], v[72:73], -v[129:130]
	v_fma_f64 v[123:124], v[90:91], v[72:73], v[131:132]
	v_fma_f64 v[125:126], v[92:93], v[68:69], -v[133:134]
	s_waitcnt vmcnt(1)
	v_mul_f64 v[137:138], v[106:107], v[58:59]
	v_mul_f64 v[139:140], v[104:105], v[58:59]
	s_waitcnt vmcnt(0)
	v_mul_f64 v[141:142], v[110:111], v[54:55]
	v_mul_f64 v[143:144], v[108:109], v[54:55]
	v_fma_f64 v[127:128], v[94:95], v[68:69], v[135:136]
	v_add_f64 v[129:130], v[98:99], v[102:103]
	v_add_f64 v[133:134], v[76:77], v[121:122]
	;; [unrolled: 1-line block ×3, first 2 shown]
	v_fma_f64 v[88:89], v[104:105], v[56:57], -v[137:138]
	v_fma_f64 v[94:95], v[106:107], v[56:57], v[139:140]
	v_fma_f64 v[90:91], v[108:109], v[52:53], -v[141:142]
	v_fma_f64 v[92:93], v[110:111], v[52:53], v[143:144]
	v_add_f64 v[104:105], v[80:81], v[96:97]
	v_add_f64 v[106:107], v[96:97], v[100:101]
	;; [unrolled: 1-line block ×3, first 2 shown]
	v_add_f64 v[137:138], v[123:124], -v[127:128]
	v_add_f64 v[139:140], v[78:79], v[123:124]
	v_add_f64 v[123:124], v[123:124], v[127:128]
	v_add_f64 v[141:142], v[121:122], -v[125:126]
	v_add_f64 v[121:122], v[88:89], v[90:91]
	v_add_f64 v[145:146], v[94:95], v[92:93]
	v_add_f64 v[108:109], v[98:99], -v[102:103]
	v_add_f64 v[131:132], v[96:97], -v[100:101]
	;; [unrolled: 1-line block ×4, first 2 shown]
	v_add_f64 v[97:98], v[104:105], v[100:101]
	v_fma_f64 v[80:81], v[106:107], -0.5, v[80:81]
	v_add_f64 v[99:100], v[110:111], v[102:103]
	v_fma_f64 v[82:83], v[129:130], -0.5, v[82:83]
	v_add_f64 v[101:102], v[133:134], v[125:126]
	v_fma_f64 v[76:77], v[135:136], -0.5, v[76:77]
	v_fma_f64 v[78:79], v[123:124], -0.5, v[78:79]
	v_fma_f64 v[110:111], v[121:122], -0.5, v[84:85]
	;; [unrolled: 1-line block ×3, first 2 shown]
	v_add_f64 v[103:104], v[139:140], v[127:128]
	v_fma_f64 v[105:106], v[108:109], s[0:1], v[80:81]
	v_fma_f64 v[121:122], v[108:109], s[4:5], v[80:81]
	;; [unrolled: 1-line block ×12, first 2 shown]
	v_lshl_add_u32 v96, v115, 4, v120
	ds_write_b128 v116, v[97:100]
	ds_write_b128 v96, v[105:108] offset:784
	ds_write_b128 v96, v[121:124] offset:1568
	;; [unrolled: 1-line block ×5, first 2 shown]
	s_and_saveexec_b64 s[0:1], vcc
	s_cbranch_execz .LBB0_5
; %bb.4:
	v_add_f64 v[86:87], v[86:87], v[94:95]
	v_add_f64 v[84:85], v[84:85], v[88:89]
	;; [unrolled: 1-line block ×4, first 2 shown]
	ds_write_b128 v116, v[84:87] offset:672
	ds_write_b128 v96, v[76:79] offset:1456
	;; [unrolled: 1-line block ×3, first 2 shown]
.LBB0_5:
	s_or_b64 exec, exec, s[0:1]
	s_waitcnt lgkmcnt(0)
	; wave barrier
	s_waitcnt lgkmcnt(0)
	global_load_dwordx4 v[84:87], v[113:114], off offset:2352
	s_add_u32 s0, s12, 0x930
	s_addc_u32 s1, s13, 0
	global_load_dwordx4 v[88:91], v117, s[0:1] offset:336
	global_load_dwordx4 v[92:95], v117, s[0:1] offset:672
	;; [unrolled: 1-line block ×6, first 2 shown]
	ds_read_b128 v[124:127], v116
	ds_read_b128 v[128:131], v116 offset:336
	ds_read_b128 v[132:135], v116 offset:672
	;; [unrolled: 1-line block ×6, first 2 shown]
	s_mov_b32 s4, 0x37e14327
	s_mov_b32 s0, 0x36b3c0b5
	s_mov_b32 s12, 0xe976ee23
	s_mov_b32 s5, 0x3fe948f6
	s_mov_b32 s1, 0x3fac98ee
	s_mov_b32 s13, 0x3fe11646
	s_mov_b32 s6, 0x429ad128
	s_mov_b32 s7, 0xbfebfeb5
	s_mov_b32 s14, 0xaaaaaaaa
	s_mov_b32 s16, 0x5476071b
	s_mov_b32 s20, 0xb247c609
	s_mov_b32 s15, 0xbff2aaaa
	s_mov_b32 s17, 0x3fe77f67
	s_mov_b32 s19, 0xbfe77f67
	s_mov_b32 s21, 0xbfd5d0dc
	s_mov_b32 s18, s16
	s_mov_b32 s25, 0x3fd5d0dc
	s_mov_b32 s24, s20
	s_mov_b32 s22, 0x37c3f68c
	s_mov_b32 s23, 0xbfdc38aa
	s_waitcnt vmcnt(5) lgkmcnt(5)
	v_mul_f64 v[113:114], v[130:131], v[90:91]
	v_mul_f64 v[90:91], v[128:129], v[90:91]
	;; [unrolled: 1-line block ×4, first 2 shown]
	s_waitcnt vmcnt(4) lgkmcnt(4)
	v_mul_f64 v[152:153], v[134:135], v[94:95]
	v_mul_f64 v[94:95], v[132:133], v[94:95]
	s_waitcnt vmcnt(3) lgkmcnt(3)
	v_mul_f64 v[154:155], v[138:139], v[99:100]
	v_mul_f64 v[99:100], v[136:137], v[99:100]
	;; [unrolled: 3-line block ×5, first 2 shown]
	v_fma_f64 v[107:108], v[124:125], v[84:85], -v[109:110]
	v_fma_f64 v[109:110], v[126:127], v[84:85], v[86:87]
	v_fma_f64 v[84:85], v[128:129], v[88:89], -v[113:114]
	v_fma_f64 v[86:87], v[130:131], v[88:89], v[90:91]
	;; [unrolled: 2-line block ×7, first 2 shown]
	ds_write_b128 v116, v[107:110]
	ds_write_b128 v116, v[84:87] offset:336
	ds_write_b128 v116, v[88:91] offset:672
	;; [unrolled: 1-line block ×6, first 2 shown]
	s_waitcnt lgkmcnt(0)
	; wave barrier
	s_waitcnt lgkmcnt(0)
	ds_read_b128 v[84:87], v116
	ds_read_b128 v[88:91], v116 offset:336
	ds_read_b128 v[92:95], v116 offset:2016
	;; [unrolled: 1-line block ×6, first 2 shown]
	s_waitcnt lgkmcnt(4)
	v_add_f64 v[109:110], v[88:89], v[92:93]
	v_add_f64 v[113:114], v[90:91], v[94:95]
	v_add_f64 v[88:89], v[88:89], -v[92:93]
	v_add_f64 v[90:91], v[90:91], -v[94:95]
	s_waitcnt lgkmcnt(0)
	v_add_f64 v[92:93], v[97:98], v[120:121]
	v_add_f64 v[94:95], v[99:100], v[122:123]
	v_add_f64 v[97:98], v[97:98], -v[120:121]
	v_add_f64 v[99:100], v[99:100], -v[122:123]
	v_add_f64 v[120:121], v[101:102], v[105:106]
	v_add_f64 v[122:123], v[103:104], v[107:108]
	v_add_f64 v[101:102], v[105:106], -v[101:102]
	v_add_f64 v[103:104], v[107:108], -v[103:104]
	;; [unrolled: 4-line block ×3, first 2 shown]
	v_add_f64 v[109:110], v[109:110], -v[120:121]
	v_add_f64 v[113:114], v[113:114], -v[122:123]
	;; [unrolled: 1-line block ×4, first 2 shown]
	v_add_f64 v[128:129], v[101:102], v[97:98]
	v_add_f64 v[130:131], v[103:104], v[99:100]
	v_add_f64 v[132:133], v[101:102], -v[97:98]
	v_add_f64 v[134:135], v[103:104], -v[99:100]
	v_add_f64 v[105:106], v[120:121], v[105:106]
	v_add_f64 v[107:108], v[122:123], v[107:108]
	v_add_f64 v[97:98], v[97:98], -v[88:89]
	v_add_f64 v[99:100], v[99:100], -v[90:91]
	v_add_f64 v[101:102], v[88:89], -v[101:102]
	v_add_f64 v[103:104], v[90:91], -v[103:104]
	v_add_f64 v[88:89], v[128:129], v[88:89]
	v_add_f64 v[90:91], v[130:131], v[90:91]
	v_mul_f64 v[109:110], v[109:110], s[4:5]
	v_mul_f64 v[113:114], v[113:114], s[4:5]
	;; [unrolled: 1-line block ×6, first 2 shown]
	v_add_f64 v[84:85], v[84:85], v[105:106]
	v_add_f64 v[86:87], v[86:87], v[107:108]
	v_mul_f64 v[132:133], v[97:98], s[6:7]
	v_mul_f64 v[134:135], v[99:100], s[6:7]
	v_fma_f64 v[92:93], v[92:93], s[0:1], v[109:110]
	v_fma_f64 v[94:95], v[94:95], s[0:1], v[113:114]
	v_fma_f64 v[120:121], v[124:125], s[16:17], -v[120:121]
	v_fma_f64 v[122:123], v[126:127], s[16:17], -v[122:123]
	;; [unrolled: 1-line block ×4, first 2 shown]
	v_fma_f64 v[124:125], v[101:102], s[20:21], v[128:129]
	v_fma_f64 v[105:106], v[105:106], s[14:15], v[84:85]
	;; [unrolled: 1-line block ×4, first 2 shown]
	v_fma_f64 v[101:102], v[101:102], s[24:25], -v[132:133]
	v_fma_f64 v[103:104], v[103:104], s[24:25], -v[134:135]
	;; [unrolled: 1-line block ×4, first 2 shown]
	v_fma_f64 v[124:125], v[88:89], s[22:23], v[124:125]
	v_add_f64 v[128:129], v[92:93], v[105:106]
	v_add_f64 v[130:131], v[94:95], v[107:108]
	;; [unrolled: 1-line block ×5, first 2 shown]
	v_fma_f64 v[113:114], v[90:91], s[22:23], v[126:127]
	v_fma_f64 v[132:133], v[90:91], s[22:23], v[103:104]
	v_fma_f64 v[134:135], v[88:89], s[22:23], v[101:102]
	v_fma_f64 v[126:127], v[88:89], s[22:23], v[97:98]
	v_fma_f64 v[101:102], v[90:91], s[22:23], v[99:100]
	v_add_f64 v[103:104], v[122:123], v[107:108]
	v_add_f64 v[90:91], v[130:131], -v[124:125]
	v_add_f64 v[122:123], v[124:125], v[130:131]
	v_add_f64 v[88:89], v[128:129], v[113:114]
	;; [unrolled: 1-line block ×3, first 2 shown]
	v_add_f64 v[94:95], v[109:110], -v[134:135]
	v_add_f64 v[105:106], v[105:106], -v[132:133]
	v_add_f64 v[97:98], v[120:121], -v[101:102]
	v_add_f64 v[99:100], v[126:127], v[103:104]
	v_add_f64 v[101:102], v[120:121], v[101:102]
	v_add_f64 v[103:104], v[103:104], -v[126:127]
	v_add_f64 v[107:108], v[134:135], v[109:110]
	v_add_f64 v[120:121], v[128:129], -v[113:114]
	s_waitcnt lgkmcnt(0)
	; wave barrier
	ds_write_b128 v118, v[84:87]
	ds_write_b128 v118, v[88:91] offset:16
	ds_write_b128 v118, v[92:95] offset:32
	;; [unrolled: 1-line block ×6, first 2 shown]
	s_waitcnt lgkmcnt(0)
	; wave barrier
	s_waitcnt lgkmcnt(0)
	ds_read_b128 v[84:87], v116 offset:336
	ds_read_b128 v[88:91], v116 offset:672
	;; [unrolled: 1-line block ×3, first 2 shown]
	ds_read_b128 v[97:100], v116
	ds_read_b128 v[101:104], v116 offset:1344
	ds_read_b128 v[105:108], v116 offset:1680
	;; [unrolled: 1-line block ×3, first 2 shown]
	s_waitcnt lgkmcnt(0)
	v_mul_f64 v[109:110], v[38:39], v[86:87]
	v_mul_f64 v[38:39], v[38:39], v[84:85]
	;; [unrolled: 1-line block ×4, first 2 shown]
	; wave barrier
	v_fma_f64 v[84:85], v[36:37], v[84:85], v[109:110]
	v_fma_f64 v[36:37], v[36:37], v[86:87], -v[38:39]
	v_fma_f64 v[38:39], v[32:33], v[88:89], v[113:114]
	v_fma_f64 v[32:33], v[32:33], v[90:91], -v[34:35]
	v_mul_f64 v[34:35], v[50:51], v[122:123]
	v_mul_f64 v[50:51], v[50:51], v[120:121]
	;; [unrolled: 1-line block ×8, first 2 shown]
	v_fma_f64 v[34:35], v[48:49], v[120:121], v[34:35]
	v_fma_f64 v[48:49], v[48:49], v[122:123], -v[50:51]
	v_fma_f64 v[50:51], v[28:29], v[92:93], v[86:87]
	v_fma_f64 v[28:29], v[28:29], v[94:95], -v[30:31]
	;; [unrolled: 2-line block ×4, first 2 shown]
	v_add_f64 v[42:43], v[84:85], v[34:35]
	v_add_f64 v[86:87], v[36:37], v[48:49]
	v_add_f64 v[34:35], v[84:85], -v[34:35]
	v_add_f64 v[36:37], v[36:37], -v[48:49]
	v_add_f64 v[48:49], v[38:39], v[30:31]
	v_add_f64 v[84:85], v[32:33], v[44:45]
	v_add_f64 v[30:31], v[38:39], -v[30:31]
	v_add_f64 v[32:33], v[32:33], -v[44:45]
	;; [unrolled: 4-line block ×4, first 2 shown]
	v_add_f64 v[42:43], v[42:43], -v[38:39]
	v_add_f64 v[86:87], v[86:87], -v[44:45]
	;; [unrolled: 1-line block ×4, first 2 shown]
	v_add_f64 v[92:93], v[46:47], v[30:31]
	v_add_f64 v[94:95], v[28:29], v[32:33]
	v_add_f64 v[101:102], v[46:47], -v[30:31]
	v_add_f64 v[103:104], v[28:29], -v[32:33]
	v_add_f64 v[38:39], v[38:39], v[40:41]
	v_add_f64 v[40:41], v[44:45], v[50:51]
	v_add_f64 v[44:45], v[34:35], -v[46:47]
	v_add_f64 v[30:31], v[30:31], -v[34:35]
	v_add_f64 v[46:47], v[32:33], -v[36:37]
	v_add_f64 v[28:29], v[36:37], -v[28:29]
	v_add_f64 v[50:51], v[92:93], v[34:35]
	v_add_f64 v[36:37], v[94:95], v[36:37]
	;; [unrolled: 1-line block ×4, first 2 shown]
	v_mul_f64 v[42:43], v[42:43], s[4:5]
	v_mul_f64 v[86:87], v[86:87], s[4:5]
	;; [unrolled: 1-line block ×8, first 2 shown]
	v_fma_f64 v[38:39], v[38:39], s[14:15], v[32:33]
	v_fma_f64 v[40:41], v[40:41], s[14:15], v[34:35]
	;; [unrolled: 1-line block ×4, first 2 shown]
	v_fma_f64 v[92:93], v[88:89], s[16:17], -v[92:93]
	v_fma_f64 v[94:95], v[90:91], s[16:17], -v[94:95]
	;; [unrolled: 1-line block ×4, first 2 shown]
	v_fma_f64 v[88:89], v[44:45], s[20:21], v[97:98]
	v_fma_f64 v[90:91], v[28:29], s[20:21], v[99:100]
	v_fma_f64 v[44:45], v[44:45], s[24:25], -v[101:102]
	v_fma_f64 v[28:29], v[28:29], s[24:25], -v[103:104]
	;; [unrolled: 1-line block ×4, first 2 shown]
	v_add_f64 v[97:98], v[48:49], v[38:39]
	v_add_f64 v[99:100], v[84:85], v[40:41]
	v_fma_f64 v[88:89], v[50:51], s[22:23], v[88:89]
	v_fma_f64 v[90:91], v[36:37], s[22:23], v[90:91]
	v_add_f64 v[48:49], v[92:93], v[38:39]
	v_add_f64 v[84:85], v[94:95], v[40:41]
	;; [unrolled: 1-line block ×4, first 2 shown]
	v_fma_f64 v[28:29], v[36:37], s[22:23], v[28:29]
	v_fma_f64 v[94:95], v[50:51], s[22:23], v[44:45]
	;; [unrolled: 1-line block ×4, first 2 shown]
	v_add_f64 v[36:37], v[90:91], v[97:98]
	v_add_f64 v[38:39], v[99:100], -v[88:89]
	v_add_f64 v[40:41], v[28:29], v[92:93]
	v_add_f64 v[42:43], v[86:87], -v[94:95]
	v_add_f64 v[44:45], v[48:49], -v[101:102]
	v_add_f64 v[46:47], v[30:31], v[84:85]
	v_add_f64 v[48:49], v[101:102], v[48:49]
	v_add_f64 v[50:51], v[84:85], -v[30:31]
	v_add_f64 v[84:85], v[92:93], -v[28:29]
	v_add_f64 v[86:87], v[94:95], v[86:87]
	v_add_f64 v[28:29], v[97:98], -v[90:91]
	v_add_f64 v[30:31], v[88:89], v[99:100]
	ds_write_b128 v119, v[32:35]
	ds_write_b128 v119, v[36:39] offset:112
	ds_write_b128 v119, v[40:43] offset:224
	ds_write_b128 v119, v[44:47] offset:336
	ds_write_b128 v119, v[48:51] offset:448
	ds_write_b128 v119, v[84:87] offset:560
	ds_write_b128 v119, v[28:31] offset:672
	s_waitcnt lgkmcnt(0)
	; wave barrier
	s_waitcnt lgkmcnt(0)
	ds_read_b128 v[36:39], v116
	ds_read_b128 v[32:35], v116 offset:336
	ds_read_b128 v[48:51], v116 offset:784
	;; [unrolled: 1-line block ×5, first 2 shown]
	v_add_u32_e32 v88, 0x150, v116
	s_and_saveexec_b64 s[0:1], vcc
	s_cbranch_execz .LBB0_7
; %bb.6:
	ds_read_b128 v[28:31], v116 offset:672
	ds_read_b128 v[76:79], v116 offset:1456
	;; [unrolled: 1-line block ×3, first 2 shown]
.LBB0_7:
	s_or_b64 exec, exec, s[0:1]
	s_waitcnt lgkmcnt(3)
	v_mul_f64 v[89:90], v[66:67], v[50:51]
	s_waitcnt lgkmcnt(1)
	v_mul_f64 v[91:92], v[62:63], v[86:87]
	v_mul_f64 v[66:67], v[66:67], v[48:49]
	;; [unrolled: 1-line block ×5, first 2 shown]
	s_mov_b32 s0, 0xe8584caa
	s_mov_b32 s1, 0xbfebb67a
	v_fma_f64 v[48:49], v[64:65], v[48:49], v[89:90]
	v_fma_f64 v[84:85], v[60:61], v[84:85], v[91:92]
	s_waitcnt lgkmcnt(0)
	v_mul_f64 v[89:90], v[70:71], v[46:47]
	v_mul_f64 v[70:71], v[70:71], v[44:45]
	v_fma_f64 v[50:51], v[64:65], v[50:51], -v[66:67]
	v_fma_f64 v[60:61], v[60:61], v[86:87], -v[62:63]
	v_fma_f64 v[64:65], v[72:73], v[40:41], v[93:94]
	v_fma_f64 v[42:43], v[72:73], v[42:43], -v[74:75]
	v_add_f64 v[40:41], v[36:37], v[48:49]
	v_add_f64 v[62:63], v[48:49], v[84:85]
	v_fma_f64 v[66:67], v[68:69], v[44:45], v[89:90]
	v_fma_f64 v[68:69], v[68:69], v[46:47], -v[70:71]
	v_add_f64 v[48:49], v[48:49], -v[84:85]
	v_add_f64 v[46:47], v[50:51], v[60:61]
	v_add_f64 v[44:45], v[50:51], -v[60:61]
	v_add_f64 v[50:51], v[38:39], v[50:51]
	s_mov_b32 s5, 0x3febb67a
	v_fma_f64 v[62:63], v[62:63], -0.5, v[36:37]
	v_add_f64 v[70:71], v[64:65], v[66:67]
	v_add_f64 v[72:73], v[42:43], v[68:69]
	s_mov_b32 s4, s0
	v_fma_f64 v[46:47], v[46:47], -0.5, v[38:39]
	v_add_f64 v[36:37], v[40:41], v[84:85]
	v_add_f64 v[84:85], v[34:35], v[42:43]
	v_add_f64 v[74:75], v[42:43], -v[68:69]
	v_fma_f64 v[40:41], v[44:45], s[0:1], v[62:63]
	v_fma_f64 v[44:45], v[44:45], s[4:5], v[62:63]
	v_add_f64 v[62:63], v[32:33], v[64:65]
	v_fma_f64 v[70:71], v[70:71], -0.5, v[32:33]
	v_fma_f64 v[72:73], v[72:73], -0.5, v[34:35]
	v_add_f64 v[64:65], v[64:65], -v[66:67]
	v_add_f64 v[38:39], v[50:51], v[60:61]
	v_fma_f64 v[42:43], v[48:49], s[4:5], v[46:47]
	v_fma_f64 v[46:47], v[48:49], s[0:1], v[46:47]
	v_add_f64 v[34:35], v[84:85], v[68:69]
	v_add_f64 v[32:33], v[62:63], v[66:67]
	v_fma_f64 v[48:49], v[74:75], s[0:1], v[70:71]
	v_fma_f64 v[60:61], v[74:75], s[4:5], v[70:71]
	;; [unrolled: 1-line block ×4, first 2 shown]
	ds_write_b128 v116, v[36:39]
	ds_write_b128 v96, v[40:43] offset:784
	ds_write_b128 v96, v[44:47] offset:1568
	;; [unrolled: 1-line block ×5, first 2 shown]
	s_and_saveexec_b64 s[6:7], vcc
	s_cbranch_execz .LBB0_9
; %bb.8:
	v_mul_f64 v[32:33], v[58:59], v[76:77]
	v_mul_f64 v[34:35], v[54:55], v[80:81]
	v_mul_f64 v[36:37], v[58:59], v[78:79]
	v_mul_f64 v[38:39], v[54:55], v[82:83]
	v_fma_f64 v[32:33], v[56:57], v[78:79], -v[32:33]
	v_fma_f64 v[34:35], v[52:53], v[82:83], -v[34:35]
	v_fma_f64 v[36:37], v[56:57], v[76:77], v[36:37]
	v_fma_f64 v[38:39], v[52:53], v[80:81], v[38:39]
	v_add_f64 v[46:47], v[30:31], v[32:33]
	v_add_f64 v[40:41], v[32:33], v[34:35]
	v_add_f64 v[32:33], v[32:33], -v[34:35]
	v_add_f64 v[42:43], v[36:37], v[38:39]
	v_add_f64 v[44:45], v[36:37], -v[38:39]
	v_add_f64 v[36:37], v[28:29], v[36:37]
	v_fma_f64 v[40:41], v[40:41], -0.5, v[30:31]
	v_add_f64 v[30:31], v[46:47], v[34:35]
	v_fma_f64 v[42:43], v[42:43], -0.5, v[28:29]
	v_add_f64 v[28:29], v[36:37], v[38:39]
	v_fma_f64 v[38:39], v[44:45], s[4:5], v[40:41]
	v_fma_f64 v[34:35], v[44:45], s[0:1], v[40:41]
	;; [unrolled: 1-line block ×4, first 2 shown]
	ds_write_b128 v116, v[28:31] offset:672
	ds_write_b128 v96, v[36:39] offset:1456
	;; [unrolled: 1-line block ×3, first 2 shown]
.LBB0_9:
	s_or_b64 exec, exec, s[6:7]
	s_waitcnt lgkmcnt(0)
	; wave barrier
	s_waitcnt lgkmcnt(0)
	ds_read_b128 v[28:31], v116
	ds_read_b128 v[32:35], v116 offset:336
	v_mad_u64_u32 v[38:39], s[0:1], s10, v112, 0
	v_mad_u64_u32 v[40:41], s[4:5], s8, v115, 0
	s_waitcnt lgkmcnt(1)
	v_mul_f64 v[36:37], v[26:27], v[30:31]
	v_mul_f64 v[26:27], v[26:27], v[28:29]
	s_mov_b32 s0, 0x899406f7
	s_mov_b32 s1, 0x3f7bdd2b
	v_fma_f64 v[28:29], v[24:25], v[28:29], v[36:37]
	v_fma_f64 v[26:27], v[24:25], v[30:31], -v[26:27]
	v_mad_u64_u32 v[24:25], s[4:5], s11, v112, v[39:40]
	v_mov_b32_e32 v25, v41
	v_mov_b32_e32 v36, s3
	;; [unrolled: 1-line block ×3, first 2 shown]
	s_mul_hi_u32 s3, s8, 0x150
	v_mad_u64_u32 v[30:31], s[4:5], s9, v115, v[25:26]
	v_mul_f64 v[24:25], v[28:29], s[0:1]
	v_mul_f64 v[26:27], v[26:27], s[0:1]
	v_mov_b32_e32 v41, v30
	s_waitcnt lgkmcnt(0)
	v_mul_f64 v[30:31], v[14:15], v[34:35]
	v_mul_f64 v[14:15], v[14:15], v[32:33]
	v_lshlrev_b64 v[28:29], 4, v[38:39]
	v_add_co_u32_e32 v37, vcc, s2, v28
	v_addc_co_u32_e32 v36, vcc, v36, v29, vcc
	v_fma_f64 v[30:31], v[12:13], v[32:33], v[30:31]
	v_fma_f64 v[32:33], v[12:13], v[34:35], -v[14:15]
	ds_read_b128 v[12:15], v116 offset:672
	v_lshlrev_b64 v[28:29], 4, v[40:41]
	s_mul_i32 s2, s9, 0x150
	v_add_co_u32_e32 v34, vcc, v37, v28
	v_addc_co_u32_e32 v35, vcc, v36, v29, vcc
	global_store_dwordx4 v[34:35], v[24:27], off
	s_add_i32 s2, s3, s2
	v_mul_f64 v[24:25], v[30:31], s[0:1]
	ds_read_b128 v[28:31], v116 offset:1008
	s_waitcnt lgkmcnt(1)
	v_mul_f64 v[36:37], v[22:23], v[14:15]
	v_mul_f64 v[22:23], v[22:23], v[12:13]
	;; [unrolled: 1-line block ×3, first 2 shown]
	s_mul_i32 s3, s8, 0x150
	s_waitcnt lgkmcnt(0)
	v_mul_f64 v[32:33], v[6:7], v[30:31]
	v_mul_f64 v[6:7], v[6:7], v[28:29]
	v_mov_b32_e32 v38, s2
	v_add_co_u32_e32 v34, vcc, s3, v34
	v_fma_f64 v[12:13], v[20:21], v[12:13], v[36:37]
	v_fma_f64 v[14:15], v[20:21], v[14:15], -v[22:23]
	ds_read_b128 v[20:23], v116 offset:1344
	v_addc_co_u32_e32 v35, vcc, v35, v38, vcc
	global_store_dwordx4 v[34:35], v[24:27], off
	v_mov_b32_e32 v36, s2
	v_fma_f64 v[24:25], v[4:5], v[28:29], v[32:33]
	v_fma_f64 v[26:27], v[4:5], v[30:31], -v[6:7]
	ds_read_b128 v[4:7], v116 offset:1680
	s_waitcnt lgkmcnt(1)
	v_mul_f64 v[28:29], v[18:19], v[22:23]
	v_mul_f64 v[18:19], v[18:19], v[20:21]
	v_mul_f64 v[12:13], v[12:13], s[0:1]
	v_mul_f64 v[14:15], v[14:15], s[0:1]
	v_add_co_u32_e32 v30, vcc, s3, v34
	v_addc_co_u32_e32 v31, vcc, v35, v36, vcc
	v_fma_f64 v[20:21], v[16:17], v[20:21], v[28:29]
	v_fma_f64 v[22:23], v[16:17], v[22:23], -v[18:19]
	ds_read_b128 v[16:19], v116 offset:2016
	global_store_dwordx4 v[30:31], v[12:15], off
	s_waitcnt lgkmcnt(0)
	v_mul_f64 v[28:29], v[10:11], v[18:19]
	v_mul_f64 v[14:15], v[26:27], s[0:1]
	;; [unrolled: 1-line block ×5, first 2 shown]
	v_mov_b32_e32 v25, s2
	v_add_co_u32_e32 v24, vcc, s3, v30
	v_addc_co_u32_e32 v25, vcc, v31, v25, vcc
	v_mul_f64 v[30:31], v[10:11], v[16:17]
	v_fma_f64 v[4:5], v[0:1], v[4:5], v[26:27]
	v_fma_f64 v[2:3], v[0:1], v[6:7], -v[2:3]
	v_fma_f64 v[6:7], v[8:9], v[16:17], v[28:29]
	global_store_dwordx4 v[24:25], v[12:15], off
	v_mul_f64 v[10:11], v[20:21], s[0:1]
	v_mul_f64 v[12:13], v[22:23], s[0:1]
	v_mov_b32_e32 v15, s2
	v_fma_f64 v[8:9], v[8:9], v[18:19], -v[30:31]
	v_mul_f64 v[0:1], v[4:5], s[0:1]
	v_mul_f64 v[2:3], v[2:3], s[0:1]
	;; [unrolled: 1-line block ×3, first 2 shown]
	v_add_co_u32_e32 v14, vcc, s3, v24
	v_addc_co_u32_e32 v15, vcc, v25, v15, vcc
	v_mul_f64 v[6:7], v[8:9], s[0:1]
	global_store_dwordx4 v[14:15], v[10:13], off
	v_add_co_u32_e32 v8, vcc, s3, v14
	v_mov_b32_e32 v10, s2
	v_addc_co_u32_e32 v9, vcc, v15, v10, vcc
	global_store_dwordx4 v[8:9], v[0:3], off
	s_nop 0
	v_mov_b32_e32 v1, s2
	v_add_co_u32_e32 v0, vcc, s3, v8
	v_addc_co_u32_e32 v1, vcc, v9, v1, vcc
	global_store_dwordx4 v[0:1], v[4:7], off
.LBB0_10:
	s_endpgm
	.section	.rodata,"a",@progbits
	.p2align	6, 0x0
	.amdhsa_kernel bluestein_single_fwd_len147_dim1_dp_op_CI_CI
		.amdhsa_group_segment_fixed_size 7056
		.amdhsa_private_segment_fixed_size 0
		.amdhsa_kernarg_size 104
		.amdhsa_user_sgpr_count 6
		.amdhsa_user_sgpr_private_segment_buffer 1
		.amdhsa_user_sgpr_dispatch_ptr 0
		.amdhsa_user_sgpr_queue_ptr 0
		.amdhsa_user_sgpr_kernarg_segment_ptr 1
		.amdhsa_user_sgpr_dispatch_id 0
		.amdhsa_user_sgpr_flat_scratch_init 0
		.amdhsa_user_sgpr_private_segment_size 0
		.amdhsa_uses_dynamic_stack 0
		.amdhsa_system_sgpr_private_segment_wavefront_offset 0
		.amdhsa_system_sgpr_workgroup_id_x 1
		.amdhsa_system_sgpr_workgroup_id_y 0
		.amdhsa_system_sgpr_workgroup_id_z 0
		.amdhsa_system_sgpr_workgroup_info 0
		.amdhsa_system_vgpr_workitem_id 0
		.amdhsa_next_free_vgpr 166
		.amdhsa_next_free_sgpr 30
		.amdhsa_reserve_vcc 1
		.amdhsa_reserve_flat_scratch 0
		.amdhsa_float_round_mode_32 0
		.amdhsa_float_round_mode_16_64 0
		.amdhsa_float_denorm_mode_32 3
		.amdhsa_float_denorm_mode_16_64 3
		.amdhsa_dx10_clamp 1
		.amdhsa_ieee_mode 1
		.amdhsa_fp16_overflow 0
		.amdhsa_exception_fp_ieee_invalid_op 0
		.amdhsa_exception_fp_denorm_src 0
		.amdhsa_exception_fp_ieee_div_zero 0
		.amdhsa_exception_fp_ieee_overflow 0
		.amdhsa_exception_fp_ieee_underflow 0
		.amdhsa_exception_fp_ieee_inexact 0
		.amdhsa_exception_int_div_zero 0
	.end_amdhsa_kernel
	.text
.Lfunc_end0:
	.size	bluestein_single_fwd_len147_dim1_dp_op_CI_CI, .Lfunc_end0-bluestein_single_fwd_len147_dim1_dp_op_CI_CI
                                        ; -- End function
	.section	.AMDGPU.csdata,"",@progbits
; Kernel info:
; codeLenInByte = 7456
; NumSgprs: 34
; NumVgprs: 166
; ScratchSize: 0
; MemoryBound: 0
; FloatMode: 240
; IeeeMode: 1
; LDSByteSize: 7056 bytes/workgroup (compile time only)
; SGPRBlocks: 4
; VGPRBlocks: 41
; NumSGPRsForWavesPerEU: 34
; NumVGPRsForWavesPerEU: 166
; Occupancy: 1
; WaveLimiterHint : 1
; COMPUTE_PGM_RSRC2:SCRATCH_EN: 0
; COMPUTE_PGM_RSRC2:USER_SGPR: 6
; COMPUTE_PGM_RSRC2:TRAP_HANDLER: 0
; COMPUTE_PGM_RSRC2:TGID_X_EN: 1
; COMPUTE_PGM_RSRC2:TGID_Y_EN: 0
; COMPUTE_PGM_RSRC2:TGID_Z_EN: 0
; COMPUTE_PGM_RSRC2:TIDIG_COMP_CNT: 0
	.type	__hip_cuid_6b46971282027655,@object ; @__hip_cuid_6b46971282027655
	.section	.bss,"aw",@nobits
	.globl	__hip_cuid_6b46971282027655
__hip_cuid_6b46971282027655:
	.byte	0                               ; 0x0
	.size	__hip_cuid_6b46971282027655, 1

	.ident	"AMD clang version 19.0.0git (https://github.com/RadeonOpenCompute/llvm-project roc-6.4.0 25133 c7fe45cf4b819c5991fe208aaa96edf142730f1d)"
	.section	".note.GNU-stack","",@progbits
	.addrsig
	.addrsig_sym __hip_cuid_6b46971282027655
	.amdgpu_metadata
---
amdhsa.kernels:
  - .args:
      - .actual_access:  read_only
        .address_space:  global
        .offset:         0
        .size:           8
        .value_kind:     global_buffer
      - .actual_access:  read_only
        .address_space:  global
        .offset:         8
        .size:           8
        .value_kind:     global_buffer
      - .actual_access:  read_only
        .address_space:  global
        .offset:         16
        .size:           8
        .value_kind:     global_buffer
      - .actual_access:  read_only
        .address_space:  global
        .offset:         24
        .size:           8
        .value_kind:     global_buffer
      - .actual_access:  read_only
        .address_space:  global
        .offset:         32
        .size:           8
        .value_kind:     global_buffer
      - .offset:         40
        .size:           8
        .value_kind:     by_value
      - .address_space:  global
        .offset:         48
        .size:           8
        .value_kind:     global_buffer
      - .address_space:  global
        .offset:         56
        .size:           8
        .value_kind:     global_buffer
      - .address_space:  global
        .offset:         64
        .size:           8
        .value_kind:     global_buffer
      - .address_space:  global
        .offset:         72
        .size:           8
        .value_kind:     global_buffer
      - .offset:         80
        .size:           4
        .value_kind:     by_value
      - .address_space:  global
        .offset:         88
        .size:           8
        .value_kind:     global_buffer
      - .address_space:  global
        .offset:         96
        .size:           8
        .value_kind:     global_buffer
    .group_segment_fixed_size: 7056
    .kernarg_segment_align: 8
    .kernarg_segment_size: 104
    .language:       OpenCL C
    .language_version:
      - 2
      - 0
    .max_flat_workgroup_size: 63
    .name:           bluestein_single_fwd_len147_dim1_dp_op_CI_CI
    .private_segment_fixed_size: 0
    .sgpr_count:     34
    .sgpr_spill_count: 0
    .symbol:         bluestein_single_fwd_len147_dim1_dp_op_CI_CI.kd
    .uniform_work_group_size: 1
    .uses_dynamic_stack: false
    .vgpr_count:     166
    .vgpr_spill_count: 0
    .wavefront_size: 64
amdhsa.target:   amdgcn-amd-amdhsa--gfx906
amdhsa.version:
  - 1
  - 2
...

	.end_amdgpu_metadata
